;; amdgpu-corpus repo=ROCm/rocFFT kind=compiled arch=gfx906 opt=O3
	.text
	.amdgcn_target "amdgcn-amd-amdhsa--gfx906"
	.amdhsa_code_object_version 6
	.protected	bluestein_single_fwd_len13_dim1_dp_op_CI_CI ; -- Begin function bluestein_single_fwd_len13_dim1_dp_op_CI_CI
	.globl	bluestein_single_fwd_len13_dim1_dp_op_CI_CI
	.p2align	8
	.type	bluestein_single_fwd_len13_dim1_dp_op_CI_CI,@function
bluestein_single_fwd_len13_dim1_dp_op_CI_CI: ; @bluestein_single_fwd_len13_dim1_dp_op_CI_CI
; %bb.0:
	s_load_dwordx4 s[0:3], s[4:5], 0x28
	v_lshl_or_b32 v1, s6, 6, v0
	v_mov_b32_e32 v2, 0
	s_waitcnt lgkmcnt(0)
	v_cmp_gt_u64_e32 vcc, s[0:1], v[1:2]
	s_and_saveexec_b64 s[0:1], vcc
	s_cbranch_execz .LBB0_2
; %bb.1:
	s_load_dwordx2 s[12:13], s[4:5], 0x0
	s_load_dwordx4 s[8:11], s[4:5], 0x18
	s_load_dwordx2 s[0:1], s[4:5], 0x38
                                        ; kill: killed $sgpr4_sgpr5
                                        ; implicit-def: $vgpr110 : SGPR spill to VGPR lane
	v_mul_u32_u24_e32 v62, 0xd0, v0
	v_mov_b32_e32 v68, 0x50
	s_waitcnt lgkmcnt(0)
	s_load_dwordx16 s[36:51], s[12:13], 0x0
	s_load_dwordx4 s[4:7], s[10:11], 0x0
	v_writelane_b32 v110, s0, 0
	v_writelane_b32 v110, s1, 1
	s_load_dwordx4 s[52:55], s[8:9], 0x0
	s_load_dwordx16 s[16:31], s[12:13], 0x40
	s_waitcnt lgkmcnt(0)
	v_writelane_b32 v110, s4, 2
	v_mad_u64_u32 v[44:45], s[0:1], s6, v1, 0
	v_mov_b32_e32 v69, 0x60
	v_mov_b32_e32 v64, 0x70
	v_mov_b32_e32 v2, v45
	v_mad_u64_u32 v[2:3], s[0:1], s7, v1, v[2:3]
	v_writelane_b32 v110, s5, 3
	v_writelane_b32 v110, s6, 4
	v_mov_b32_e32 v45, v2
	v_mad_u64_u32 v[2:3], s[0:1], s54, v1, 0
	v_writelane_b32 v110, s7, 5
	v_writelane_b32 v110, s12, 6
	v_mad_u64_u32 v[3:4], s[0:1], s55, v1, v[3:4]
	s_lshl_b64 s[0:1], s[52:53], 4
	v_mov_b32_e32 v0, s1
	v_lshlrev_b64 v[1:2], 4, v[2:3]
	v_mov_b32_e32 v3, s3
	v_add_co_u32_e32 v1, vcc, s2, v1
	v_addc_co_u32_e32 v2, vcc, v3, v2, vcc
	global_load_dwordx4 v[3:6], v[1:2], off
	s_load_dwordx16 s[72:87], s[12:13], 0x80
	v_mov_b32_e32 v67, 0x90
	v_mov_b32_e32 v66, 0xa0
	v_mov_b32_e32 v65, 0xb0
	v_mov_b32_e32 v63, 0xc0
	s_mov_b32 s70, 0x42a4c3d2
	s_mov_b32 s14, 0x66966769
	;; [unrolled: 1-line block ×10, first 2 shown]
	v_writelane_b32 v110, s13, 7
	s_mov_b32 s88, 0xe00740e9
	s_mov_b32 s8, 0xebaa3ed8
	;; [unrolled: 1-line block ×16, first 2 shown]
	s_waitcnt vmcnt(0)
	v_mul_f64 v[7:8], v[5:6], s[38:39]
	v_fma_f64 v[7:8], v[3:4], s[36:37], v[7:8]
	v_mul_f64 v[3:4], v[3:4], s[38:39]
	v_fma_f64 v[9:10], v[5:6], s[36:37], -v[3:4]
	v_add_co_u32_e32 v3, vcc, s0, v1
	v_addc_co_u32_e32 v4, vcc, v2, v0, vcc
	global_load_dwordx4 v[3:6], v[3:4], off
	s_lshl_b64 s[0:1], s[52:53], 5
	v_mov_b32_e32 v0, s1
	ds_write_b128 v62, v[7:10]
	s_waitcnt vmcnt(0)
	v_mul_f64 v[7:8], v[5:6], s[42:43]
	v_fma_f64 v[7:8], v[3:4], s[40:41], v[7:8]
	v_mul_f64 v[3:4], v[3:4], s[42:43]
	v_fma_f64 v[9:10], v[5:6], s[40:41], -v[3:4]
	v_add_co_u32_e32 v3, vcc, s0, v1
	v_addc_co_u32_e32 v4, vcc, v2, v0, vcc
	global_load_dwordx4 v[3:6], v[3:4], off
	ds_write_b128 v62, v[7:10] offset:16
	s_waitcnt vmcnt(0)
	v_mul_f64 v[7:8], v[5:6], s[46:47]
	v_fma_f64 v[7:8], v[3:4], s[44:45], v[7:8]
	v_mul_f64 v[3:4], v[3:4], s[46:47]
	v_fma_f64 v[9:10], v[5:6], s[44:45], -v[3:4]
	v_mad_u64_u32 v[3:4], s[0:1], s52, 48, v[1:2]
	v_mov_b32_e32 v0, v4
	v_mad_u64_u32 v[4:5], s[0:1], s53, 48, v[0:1]
	ds_write_b128 v62, v[7:10] offset:32
	s_lshl_b64 s[0:1], s[52:53], 6
	global_load_dwordx4 v[3:6], v[3:4], off
	v_mov_b32_e32 v0, s1
	s_waitcnt vmcnt(0)
	v_mul_f64 v[7:8], v[5:6], s[50:51]
	v_fma_f64 v[7:8], v[3:4], s[48:49], v[7:8]
	v_mul_f64 v[3:4], v[3:4], s[50:51]
	v_fma_f64 v[9:10], v[5:6], s[48:49], -v[3:4]
	v_add_co_u32_e32 v3, vcc, s0, v1
	v_addc_co_u32_e32 v4, vcc, v2, v0, vcc
	global_load_dwordx4 v[3:6], v[3:4], off
	ds_write_b128 v62, v[7:10] offset:48
	s_waitcnt vmcnt(0)
	v_mul_f64 v[7:8], v[5:6], s[18:19]
	v_fma_f64 v[7:8], v[3:4], s[16:17], v[7:8]
	v_mul_f64 v[3:4], v[3:4], s[18:19]
	v_fma_f64 v[9:10], v[5:6], s[16:17], -v[3:4]
	v_mad_u64_u32 v[3:4], s[0:1], s52, v68, v[1:2]
	s_mul_i32 s0, s53, 0x50
	v_add_u32_e32 v4, s0, v4
	global_load_dwordx4 v[3:6], v[3:4], off
	ds_write_b128 v62, v[7:10] offset:64
	s_waitcnt vmcnt(0)
	v_mul_f64 v[7:8], v[5:6], s[22:23]
	v_fma_f64 v[7:8], v[3:4], s[20:21], v[7:8]
	v_mul_f64 v[3:4], v[3:4], s[22:23]
	v_fma_f64 v[9:10], v[5:6], s[20:21], -v[3:4]
	v_mad_u64_u32 v[3:4], s[0:1], s52, v69, v[1:2]
	s_mul_i32 s0, s53, 0x60
	v_add_u32_e32 v4, s0, v4
	;; [unrolled: 10-line block ×3, first 2 shown]
	global_load_dwordx4 v[3:6], v[3:4], off
	s_lshl_b64 s[0:1], s[52:53], 7
	ds_write_b128 v62, v[7:10] offset:96
	v_mov_b32_e32 v0, s1
	s_waitcnt vmcnt(0)
	v_mul_f64 v[7:8], v[5:6], s[30:31]
	v_fma_f64 v[7:8], v[3:4], s[28:29], v[7:8]
	v_mul_f64 v[3:4], v[3:4], s[30:31]
	v_fma_f64 v[9:10], v[5:6], s[28:29], -v[3:4]
	v_add_co_u32_e32 v3, vcc, s0, v1
	v_addc_co_u32_e32 v4, vcc, v2, v0, vcc
	global_load_dwordx4 v[3:6], v[3:4], off
	s_mov_b32 vcc_lo, 0xd0032e0c
	s_mov_b32 vcc_hi, 0xbfe7f3cc
	ds_write_b128 v62, v[7:10] offset:112
	s_waitcnt vmcnt(0) lgkmcnt(0)
	v_mul_f64 v[7:8], v[5:6], s[74:75]
	v_fma_f64 v[7:8], v[3:4], s[72:73], v[7:8]
	v_mul_f64 v[3:4], v[3:4], s[74:75]
	v_fma_f64 v[9:10], v[5:6], s[72:73], -v[3:4]
	v_mad_u64_u32 v[3:4], s[0:1], s52, v67, v[1:2]
	s_mul_i32 s0, s53, 0x90
	v_add_u32_e32 v4, s0, v4
	global_load_dwordx4 v[3:6], v[3:4], off
	ds_write_b128 v62, v[7:10] offset:128
	s_waitcnt vmcnt(0)
	v_mul_f64 v[7:8], v[5:6], s[78:79]
	v_fma_f64 v[7:8], v[3:4], s[76:77], v[7:8]
	v_mul_f64 v[3:4], v[3:4], s[78:79]
	v_fma_f64 v[9:10], v[5:6], s[76:77], -v[3:4]
	v_mad_u64_u32 v[3:4], s[0:1], s52, v66, v[1:2]
	s_mul_i32 s0, s53, 0xa0
	v_add_u32_e32 v4, s0, v4
	global_load_dwordx4 v[3:6], v[3:4], off
	ds_write_b128 v62, v[7:10] offset:144
	s_waitcnt vmcnt(0)
	v_mul_f64 v[7:8], v[5:6], s[82:83]
	v_fma_f64 v[7:8], v[3:4], s[80:81], v[7:8]
	v_mul_f64 v[3:4], v[3:4], s[82:83]
	v_fma_f64 v[9:10], v[5:6], s[80:81], -v[3:4]
	v_mad_u64_u32 v[3:4], s[0:1], s52, v65, v[1:2]
	s_mul_i32 s0, s53, 0xb0
	v_add_u32_e32 v4, s0, v4
	global_load_dwordx4 v[3:6], v[3:4], off
	v_mad_u64_u32 v[0:1], s[0:1], s52, v63, v[1:2]
	ds_write_b128 v62, v[7:10] offset:160
	s_mul_i32 s0, s53, 0xc0
	v_add_u32_e32 v1, s0, v1
	s_load_dwordx16 s[52:67], s[12:13], 0xc0
	s_mov_b32 s0, 0x4267c47c
	s_mov_b32 s1, 0xbfddbe06
	;; [unrolled: 1-line block ×4, first 2 shown]
	s_waitcnt vmcnt(0)
	v_mul_f64 v[7:8], v[5:6], s[86:87]
	v_fma_f64 v[7:8], v[3:4], s[84:85], v[7:8]
	v_mul_f64 v[3:4], v[3:4], s[86:87]
	v_fma_f64 v[9:10], v[5:6], s[84:85], -v[3:4]
	global_load_dwordx4 v[0:3], v[0:1], off
	ds_write_b128 v62, v[7:10] offset:176
	s_waitcnt vmcnt(0) lgkmcnt(0)
	v_mul_f64 v[4:5], v[2:3], s[54:55]
	v_fma_f64 v[4:5], v[0:1], s[52:53], v[4:5]
	v_mul_f64 v[0:1], v[0:1], s[54:55]
	v_fma_f64 v[6:7], v[2:3], s[52:53], -v[0:1]
	ds_write_b128 v62, v[4:7] offset:192
	s_waitcnt lgkmcnt(0)
	; wave barrier
	s_waitcnt lgkmcnt(0)
	ds_read_b128 v[46:49], v62
	ds_read_b128 v[50:53], v62 offset:16
	ds_read_b128 v[36:39], v62 offset:32
	;; [unrolled: 1-line block ×12, first 2 shown]
	s_waitcnt lgkmcnt(11)
	v_add_f64 v[0:1], v[46:47], v[50:51]
	v_add_f64 v[2:3], v[48:49], v[52:53]
	s_waitcnt lgkmcnt(0)
	v_add_f64 v[60:61], v[52:53], v[56:57]
	v_add_f64 v[52:53], v[52:53], -v[56:57]
	v_add_f64 v[58:59], v[50:51], v[54:55]
	v_add_f64 v[50:51], v[50:51], -v[54:55]
	v_add_f64 v[0:1], v[0:1], v[36:37]
	v_add_f64 v[2:3], v[2:3], v[38:39]
	v_mul_f64 v[74:75], v[52:53], s[70:71]
	v_mul_f64 v[82:83], v[52:53], s[14:15]
	;; [unrolled: 1-line block ×3, first 2 shown]
	v_add_f64 v[0:1], v[0:1], v[28:29]
	v_add_f64 v[2:3], v[2:3], v[30:31]
	v_mul_f64 v[98:99], v[52:53], s[4:5]
	v_mul_f64 v[70:71], v[50:51], s[0:1]
	;; [unrolled: 1-line block ×3, first 2 shown]
	v_fma_f64 v[76:77], v[58:59], s[12:13], -v[74:75]
	v_fma_f64 v[74:75], v[58:59], s[12:13], v[74:75]
	v_fma_f64 v[84:85], v[58:59], s[8:9], -v[82:83]
	v_add_f64 v[0:1], v[0:1], v[20:21]
	v_add_f64 v[2:3], v[2:3], v[22:23]
	v_mul_f64 v[86:87], v[50:51], s[14:15]
	v_fma_f64 v[82:83], v[58:59], s[8:9], v[82:83]
	v_fma_f64 v[92:93], v[58:59], s[10:11], -v[90:91]
	v_mul_f64 v[94:95], v[50:51], s[68:69]
	v_fma_f64 v[90:91], v[58:59], s[10:11], v[90:91]
	v_fma_f64 v[100:101], v[58:59], vcc, -v[98:99]
	v_add_f64 v[0:1], v[0:1], v[12:13]
	v_add_f64 v[2:3], v[2:3], v[14:15]
	v_mul_f64 v[102:103], v[50:51], s[4:5]
	v_fma_f64 v[98:99], v[58:59], vcc, v[98:99]
	v_mul_f64 v[50:51], v[50:51], s[6:7]
	v_fma_f64 v[72:73], v[60:61], s[88:89], v[70:71]
	v_fma_f64 v[70:71], v[60:61], s[88:89], -v[70:71]
	v_add_f64 v[76:77], v[46:47], v[76:77]
	v_add_f64 v[0:1], v[0:1], v[4:5]
	;; [unrolled: 1-line block ×3, first 2 shown]
	v_fma_f64 v[80:81], v[60:61], s[12:13], v[78:79]
	v_add_f64 v[74:75], v[46:47], v[74:75]
	v_fma_f64 v[78:79], v[60:61], s[12:13], -v[78:79]
	v_add_f64 v[84:85], v[46:47], v[84:85]
	v_fma_f64 v[88:89], v[60:61], s[8:9], v[86:87]
	v_add_f64 v[82:83], v[46:47], v[82:83]
	v_add_f64 v[0:1], v[0:1], v[8:9]
	;; [unrolled: 1-line block ×3, first 2 shown]
	v_fma_f64 v[86:87], v[60:61], s[8:9], -v[86:87]
	v_add_f64 v[92:93], v[46:47], v[92:93]
	v_fma_f64 v[96:97], v[60:61], s[10:11], v[94:95]
	v_add_f64 v[90:91], v[46:47], v[90:91]
	v_fma_f64 v[94:95], v[60:61], s[10:11], -v[94:95]
	v_add_f64 v[100:101], v[46:47], v[100:101]
	v_add_f64 v[0:1], v[0:1], v[16:17]
	;; [unrolled: 1-line block ×3, first 2 shown]
	v_fma_f64 v[104:105], v[60:61], vcc, v[102:103]
	v_add_f64 v[98:99], v[46:47], v[98:99]
	v_fma_f64 v[102:103], v[60:61], vcc, -v[102:103]
	v_fma_f64 v[108:109], v[60:61], s[2:3], v[50:51]
	v_fma_f64 v[50:51], v[60:61], s[2:3], -v[50:51]
	v_add_f64 v[72:73], v[48:49], v[72:73]
	v_add_f64 v[0:1], v[0:1], v[24:25]
	;; [unrolled: 1-line block ×19, first 2 shown]
	v_add_f64 v[36:37], v[36:37], -v[40:41]
	v_add_f64 v[0:1], v[0:1], v[54:55]
	v_mul_f64 v[54:55], v[52:53], s[0:1]
	v_mul_f64 v[52:53], v[52:53], s[6:7]
	v_add_f64 v[2:3], v[2:3], v[56:57]
	s_mov_b32 s1, 0x3fddbe06
	v_fma_f64 v[56:57], v[58:59], s[88:89], -v[54:55]
	v_fma_f64 v[54:55], v[58:59], s[88:89], v[54:55]
	v_fma_f64 v[106:107], v[58:59], s[2:3], -v[52:53]
	v_fma_f64 v[52:53], v[58:59], s[2:3], v[52:53]
	v_add_f64 v[56:57], v[46:47], v[56:57]
	v_add_f64 v[54:55], v[46:47], v[54:55]
	;; [unrolled: 1-line block ×5, first 2 shown]
	v_add_f64 v[38:39], v[38:39], -v[42:43]
	v_mul_f64 v[40:41], v[38:39], s[70:71]
	v_fma_f64 v[42:43], v[50:51], s[12:13], -v[40:41]
	v_fma_f64 v[40:41], v[50:51], s[12:13], v[40:41]
	v_add_f64 v[42:43], v[42:43], v[56:57]
	v_mul_f64 v[56:57], v[36:37], s[70:71]
	v_add_f64 v[40:41], v[40:41], v[54:55]
	v_fma_f64 v[58:59], v[52:53], s[12:13], v[56:57]
	v_fma_f64 v[54:55], v[52:53], s[12:13], -v[56:57]
	v_mul_f64 v[56:57], v[38:39], s[68:69]
	v_add_f64 v[58:59], v[58:59], v[72:73]
	v_add_f64 v[54:55], v[54:55], v[70:71]
	v_fma_f64 v[60:61], v[50:51], s[10:11], -v[56:57]
	v_mul_f64 v[70:71], v[36:37], s[68:69]
	v_fma_f64 v[56:57], v[50:51], s[10:11], v[56:57]
	v_add_f64 v[60:61], v[60:61], v[76:77]
	v_fma_f64 v[72:73], v[52:53], s[10:11], v[70:71]
	v_add_f64 v[56:57], v[56:57], v[74:75]
	v_fma_f64 v[70:71], v[52:53], s[10:11], -v[70:71]
	v_mul_f64 v[74:75], v[38:39], s[6:7]
	v_add_f64 v[72:73], v[72:73], v[80:81]
	v_add_f64 v[70:71], v[70:71], v[78:79]
	v_fma_f64 v[76:77], v[50:51], s[2:3], -v[74:75]
	v_mul_f64 v[78:79], v[36:37], s[6:7]
	v_fma_f64 v[74:75], v[50:51], s[2:3], v[74:75]
	v_add_f64 v[76:77], v[76:77], v[84:85]
	v_fma_f64 v[80:81], v[52:53], s[2:3], v[78:79]
	v_add_f64 v[74:75], v[74:75], v[82:83]
	v_fma_f64 v[78:79], v[52:53], s[2:3], -v[78:79]
	v_mul_f64 v[82:83], v[38:39], s[94:95]
	v_add_f64 v[80:81], v[80:81], v[88:89]
	v_add_f64 v[78:79], v[78:79], v[86:87]
	v_fma_f64 v[84:85], v[50:51], vcc, -v[82:83]
	v_mul_f64 v[86:87], v[36:37], s[94:95]
	v_fma_f64 v[82:83], v[50:51], vcc, v[82:83]
	v_add_f64 v[84:85], v[84:85], v[92:93]
	v_fma_f64 v[88:89], v[52:53], vcc, v[86:87]
	v_add_f64 v[82:83], v[82:83], v[90:91]
	v_fma_f64 v[86:87], v[52:53], vcc, -v[86:87]
	v_mul_f64 v[90:91], v[38:39], s[34:35]
	v_mul_f64 v[38:39], v[38:39], s[0:1]
	v_add_f64 v[88:89], v[88:89], v[96:97]
	v_add_f64 v[86:87], v[86:87], v[94:95]
	v_fma_f64 v[92:93], v[50:51], s[8:9], -v[90:91]
	v_mul_f64 v[94:95], v[36:37], s[34:35]
	v_mul_f64 v[36:37], v[36:37], s[0:1]
	v_fma_f64 v[90:91], v[50:51], s[8:9], v[90:91]
	v_add_f64 v[92:93], v[92:93], v[100:101]
	v_fma_f64 v[96:97], v[52:53], s[8:9], v[94:95]
	v_fma_f64 v[100:101], v[52:53], s[88:89], v[36:37]
	v_fma_f64 v[36:37], v[52:53], s[88:89], -v[36:37]
	v_add_f64 v[90:91], v[90:91], v[98:99]
	v_fma_f64 v[98:99], v[50:51], s[88:89], -v[38:39]
	v_fma_f64 v[38:39], v[50:51], s[88:89], v[38:39]
	v_fma_f64 v[94:95], v[52:53], s[8:9], -v[94:95]
	v_add_f64 v[96:97], v[96:97], v[104:105]
	v_add_f64 v[100:101], v[100:101], v[108:109]
	;; [unrolled: 1-line block ×4, first 2 shown]
	v_add_f64 v[30:31], v[30:31], -v[34:35]
	v_add_f64 v[38:39], v[38:39], v[46:47]
	v_add_f64 v[46:47], v[28:29], v[32:33]
	v_add_f64 v[28:29], v[28:29], -v[32:33]
	v_add_f64 v[98:99], v[98:99], v[106:107]
	v_add_f64 v[94:95], v[94:95], v[102:103]
	v_mul_f64 v[32:33], v[30:31], s[14:15]
	v_fma_f64 v[34:35], v[46:47], s[8:9], -v[32:33]
	v_fma_f64 v[32:33], v[46:47], s[8:9], v[32:33]
	v_add_f64 v[34:35], v[34:35], v[42:43]
	v_mul_f64 v[42:43], v[28:29], s[14:15]
	v_add_f64 v[32:33], v[32:33], v[40:41]
	v_fma_f64 v[50:51], v[48:49], s[8:9], v[42:43]
	v_fma_f64 v[40:41], v[48:49], s[8:9], -v[42:43]
	v_mul_f64 v[42:43], v[30:31], s[6:7]
	v_add_f64 v[50:51], v[50:51], v[58:59]
	v_add_f64 v[40:41], v[40:41], v[54:55]
	v_fma_f64 v[52:53], v[46:47], s[2:3], -v[42:43]
	v_fma_f64 v[42:43], v[46:47], s[2:3], v[42:43]
	v_mul_f64 v[54:55], v[28:29], s[6:7]
	v_add_f64 v[52:53], v[52:53], v[60:61]
	v_add_f64 v[42:43], v[42:43], v[56:57]
	v_mul_f64 v[56:57], v[30:31], s[90:91]
	v_fma_f64 v[58:59], v[48:49], s[2:3], v[54:55]
	v_fma_f64 v[54:55], v[48:49], s[2:3], -v[54:55]
	v_fma_f64 v[60:61], v[46:47], s[10:11], -v[56:57]
	v_fma_f64 v[56:57], v[46:47], s[10:11], v[56:57]
	v_add_f64 v[54:55], v[54:55], v[70:71]
	v_mul_f64 v[70:71], v[28:29], s[90:91]
	v_add_f64 v[58:59], v[58:59], v[72:73]
	v_add_f64 v[60:61], v[60:61], v[76:77]
	;; [unrolled: 1-line block ×3, first 2 shown]
	v_mul_f64 v[74:75], v[30:31], s[0:1]
	v_fma_f64 v[72:73], v[48:49], s[10:11], v[70:71]
	v_fma_f64 v[70:71], v[48:49], s[10:11], -v[70:71]
	v_fma_f64 v[76:77], v[46:47], s[88:89], -v[74:75]
	v_fma_f64 v[74:75], v[46:47], s[88:89], v[74:75]
	v_add_f64 v[70:71], v[70:71], v[78:79]
	v_mul_f64 v[78:79], v[28:29], s[0:1]
	v_add_f64 v[72:73], v[72:73], v[80:81]
	v_add_f64 v[76:77], v[76:77], v[84:85]
	v_add_f64 v[74:75], v[74:75], v[82:83]
	v_mul_f64 v[82:83], v[30:31], s[70:71]
	v_fma_f64 v[80:81], v[48:49], s[88:89], v[78:79]
	v_fma_f64 v[78:79], v[48:49], s[88:89], -v[78:79]
	v_mul_f64 v[30:31], v[30:31], s[4:5]
	v_fma_f64 v[84:85], v[46:47], s[12:13], -v[82:83]
	v_fma_f64 v[82:83], v[46:47], s[12:13], v[82:83]
	v_add_f64 v[78:79], v[78:79], v[86:87]
	v_mul_f64 v[86:87], v[28:29], s[70:71]
	v_mul_f64 v[28:29], v[28:29], s[4:5]
	v_add_f64 v[80:81], v[80:81], v[88:89]
	v_add_f64 v[84:85], v[84:85], v[92:93]
	;; [unrolled: 1-line block ×3, first 2 shown]
	v_fma_f64 v[90:91], v[46:47], vcc, -v[30:31]
	v_fma_f64 v[30:31], v[46:47], vcc, v[30:31]
	v_fma_f64 v[92:93], v[48:49], vcc, v[28:29]
	v_fma_f64 v[28:29], v[48:49], vcc, -v[28:29]
	v_fma_f64 v[88:89], v[48:49], s[12:13], v[86:87]
	v_fma_f64 v[86:87], v[48:49], s[12:13], -v[86:87]
	v_add_f64 v[90:91], v[90:91], v[98:99]
	v_add_f64 v[30:31], v[30:31], v[38:39]
	;; [unrolled: 1-line block ×3, first 2 shown]
	v_add_f64 v[22:23], v[22:23], -v[26:27]
	v_add_f64 v[28:29], v[28:29], v[36:37]
	v_add_f64 v[36:37], v[20:21], v[24:25]
	v_add_f64 v[20:21], v[20:21], -v[24:25]
	v_add_f64 v[88:89], v[88:89], v[96:97]
	v_add_f64 v[86:87], v[86:87], v[94:95]
	;; [unrolled: 1-line block ×3, first 2 shown]
	v_mul_f64 v[24:25], v[22:23], s[68:69]
	v_mul_f64 v[48:49], v[20:21], s[94:95]
	v_fma_f64 v[26:27], v[36:37], s[10:11], -v[24:25]
	v_fma_f64 v[24:25], v[36:37], s[10:11], v[24:25]
	v_add_f64 v[26:27], v[26:27], v[34:35]
	v_mul_f64 v[34:35], v[20:21], s[68:69]
	v_add_f64 v[24:25], v[24:25], v[32:33]
	v_fma_f64 v[46:47], v[38:39], s[10:11], v[34:35]
	v_fma_f64 v[32:33], v[38:39], s[10:11], -v[34:35]
	v_mul_f64 v[34:35], v[22:23], s[94:95]
	v_add_f64 v[46:47], v[46:47], v[50:51]
	v_add_f64 v[32:33], v[32:33], v[40:41]
	v_fma_f64 v[40:41], v[36:37], vcc, -v[34:35]
	v_fma_f64 v[34:35], v[36:37], vcc, v[34:35]
	v_fma_f64 v[50:51], v[38:39], vcc, v[48:49]
	v_add_f64 v[40:41], v[40:41], v[52:53]
	v_add_f64 v[34:35], v[34:35], v[42:43]
	v_fma_f64 v[42:43], v[38:39], vcc, -v[48:49]
	v_mul_f64 v[48:49], v[22:23], s[0:1]
	v_add_f64 v[50:51], v[50:51], v[58:59]
	v_add_f64 v[42:43], v[42:43], v[54:55]
	v_fma_f64 v[52:53], v[36:37], s[88:89], -v[48:49]
	v_fma_f64 v[48:49], v[36:37], s[88:89], v[48:49]
	v_mul_f64 v[54:55], v[20:21], s[0:1]
	v_add_f64 v[52:53], v[52:53], v[60:61]
	v_add_f64 v[48:49], v[48:49], v[56:57]
	v_mul_f64 v[56:57], v[22:23], s[14:15]
	v_fma_f64 v[58:59], v[38:39], s[88:89], v[54:55]
	v_fma_f64 v[54:55], v[38:39], s[88:89], -v[54:55]
	v_fma_f64 v[60:61], v[36:37], s[8:9], -v[56:57]
	v_fma_f64 v[56:57], v[36:37], s[8:9], v[56:57]
	v_add_f64 v[54:55], v[54:55], v[70:71]
	v_mul_f64 v[70:71], v[20:21], s[14:15]
	s_mov_b32 s15, 0x3fea55e2
	s_mov_b32 s14, s70
	v_add_f64 v[58:59], v[58:59], v[72:73]
	v_add_f64 v[60:61], v[60:61], v[76:77]
	;; [unrolled: 1-line block ×3, first 2 shown]
	v_mul_f64 v[74:75], v[22:23], s[92:93]
	v_fma_f64 v[72:73], v[38:39], s[8:9], v[70:71]
	v_fma_f64 v[70:71], v[38:39], s[8:9], -v[70:71]
	v_mul_f64 v[22:23], v[22:23], s[14:15]
	v_fma_f64 v[76:77], v[36:37], s[2:3], -v[74:75]
	v_fma_f64 v[74:75], v[36:37], s[2:3], v[74:75]
	v_add_f64 v[70:71], v[70:71], v[78:79]
	v_mul_f64 v[78:79], v[20:21], s[92:93]
	v_mul_f64 v[20:21], v[20:21], s[14:15]
	v_add_f64 v[72:73], v[72:73], v[80:81]
	v_add_f64 v[76:77], v[76:77], v[84:85]
	;; [unrolled: 1-line block ×3, first 2 shown]
	v_fma_f64 v[82:83], v[36:37], s[12:13], -v[22:23]
	v_fma_f64 v[22:23], v[36:37], s[12:13], v[22:23]
	v_fma_f64 v[84:85], v[38:39], s[12:13], v[20:21]
	v_fma_f64 v[20:21], v[38:39], s[12:13], -v[20:21]
	v_fma_f64 v[80:81], v[38:39], s[2:3], v[78:79]
	v_fma_f64 v[78:79], v[38:39], s[2:3], -v[78:79]
	v_add_f64 v[82:83], v[82:83], v[90:91]
	v_add_f64 v[22:23], v[22:23], v[30:31]
	;; [unrolled: 1-line block ×3, first 2 shown]
	v_add_f64 v[14:15], v[14:15], -v[18:19]
	v_add_f64 v[20:21], v[20:21], v[28:29]
	v_add_f64 v[28:29], v[12:13], v[16:17]
	v_add_f64 v[12:13], v[12:13], -v[16:17]
	v_add_f64 v[80:81], v[80:81], v[88:89]
	v_add_f64 v[88:89], v[6:7], -v[10:11]
	;; [unrolled: 2-line block ×3, first 2 shown]
	v_mul_f64 v[16:17], v[14:15], s[4:5]
	v_add_f64 v[84:85], v[84:85], v[92:93]
	v_mul_f64 v[38:39], v[12:13], s[34:35]
	v_fma_f64 v[18:19], v[28:29], vcc, -v[16:17]
	v_fma_f64 v[16:17], v[28:29], vcc, v[16:17]
	v_add_f64 v[18:19], v[18:19], v[26:27]
	v_mul_f64 v[26:27], v[12:13], s[4:5]
	v_add_f64 v[16:17], v[16:17], v[24:25]
	v_fma_f64 v[36:37], v[30:31], vcc, v[26:27]
	v_fma_f64 v[24:25], v[30:31], vcc, -v[26:27]
	v_mul_f64 v[26:27], v[14:15], s[34:35]
	v_add_f64 v[36:37], v[36:37], v[46:47]
	v_add_f64 v[24:25], v[24:25], v[32:33]
	v_fma_f64 v[32:33], v[28:29], s[8:9], -v[26:27]
	v_fma_f64 v[26:27], v[28:29], s[8:9], v[26:27]
	v_mul_f64 v[46:47], v[12:13], s[70:71]
	v_add_f64 v[32:33], v[32:33], v[40:41]
	v_fma_f64 v[40:41], v[30:31], s[8:9], v[38:39]
	v_add_f64 v[26:27], v[26:27], v[34:35]
	v_fma_f64 v[34:35], v[30:31], s[8:9], -v[38:39]
	v_mul_f64 v[38:39], v[14:15], s[70:71]
	v_add_f64 v[40:41], v[40:41], v[50:51]
	v_fma_f64 v[50:51], v[30:31], s[12:13], v[46:47]
	v_add_f64 v[34:35], v[34:35], v[42:43]
	v_fma_f64 v[42:43], v[28:29], s[12:13], -v[38:39]
	v_fma_f64 v[38:39], v[28:29], s[12:13], v[38:39]
	v_fma_f64 v[46:47], v[30:31], s[12:13], -v[46:47]
	v_add_f64 v[50:51], v[50:51], v[58:59]
	v_add_f64 v[42:43], v[42:43], v[52:53]
	;; [unrolled: 1-line block ×3, first 2 shown]
	v_mul_f64 v[48:49], v[14:15], s[92:93]
	v_add_f64 v[46:47], v[46:47], v[54:55]
	v_mul_f64 v[54:55], v[12:13], s[92:93]
	v_fma_f64 v[52:53], v[28:29], s[2:3], -v[48:49]
	v_fma_f64 v[48:49], v[28:29], s[2:3], v[48:49]
	v_fma_f64 v[58:59], v[30:31], s[2:3], v[54:55]
	v_fma_f64 v[54:55], v[30:31], s[2:3], -v[54:55]
	v_add_f64 v[52:53], v[52:53], v[60:61]
	v_add_f64 v[48:49], v[48:49], v[56:57]
	v_mul_f64 v[56:57], v[14:15], s[0:1]
	v_mul_f64 v[14:15], v[14:15], s[68:69]
	v_add_f64 v[54:55], v[54:55], v[70:71]
	v_mul_f64 v[70:71], v[12:13], s[0:1]
	v_mul_f64 v[12:13], v[12:13], s[68:69]
	v_add_f64 v[58:59], v[58:59], v[72:73]
	v_fma_f64 v[60:61], v[28:29], s[88:89], -v[56:57]
	v_fma_f64 v[56:57], v[28:29], s[88:89], v[56:57]
	v_fma_f64 v[72:73], v[30:31], s[88:89], v[70:71]
	v_fma_f64 v[70:71], v[30:31], s[88:89], -v[70:71]
	v_add_f64 v[60:61], v[60:61], v[76:77]
	v_add_f64 v[56:57], v[56:57], v[74:75]
	v_fma_f64 v[74:75], v[28:29], s[10:11], -v[14:15]
	v_fma_f64 v[76:77], v[30:31], s[10:11], v[12:13]
	v_fma_f64 v[12:13], v[30:31], s[10:11], -v[12:13]
	v_add_f64 v[72:73], v[72:73], v[80:81]
	v_fma_f64 v[14:15], v[28:29], s[10:11], v[14:15]
	v_add_f64 v[70:71], v[70:71], v[78:79]
	v_add_f64 v[74:75], v[74:75], v[82:83]
	;; [unrolled: 1-line block ×3, first 2 shown]
	v_mul_f64 v[8:9], v[88:89], s[6:7]
	v_add_f64 v[76:77], v[76:77], v[84:85]
	v_add_f64 v[84:85], v[6:7], v[10:11]
	v_mul_f64 v[10:11], v[86:87], s[6:7]
	v_add_f64 v[80:81], v[12:13], v[20:21]
	v_add_f64 v[78:79], v[14:15], v[22:23]
	v_fma_f64 v[4:5], v[82:83], s[2:3], -v[8:9]
	v_fma_f64 v[8:9], v[82:83], s[2:3], v[8:9]
	v_fma_f64 v[6:7], v[84:85], s[2:3], v[10:11]
	v_fma_f64 v[10:11], v[84:85], s[2:3], -v[10:11]
	v_add_f64 v[4:5], v[4:5], v[18:19]
	v_add_f64 v[8:9], v[8:9], v[16:17]
	v_mul_f64 v[16:17], v[88:89], s[0:1]
	v_mul_f64 v[18:19], v[86:87], s[0:1]
	v_add_f64 v[10:11], v[10:11], v[24:25]
	v_mul_f64 v[24:25], v[88:89], s[4:5]
	v_add_f64 v[6:7], v[6:7], v[36:37]
	v_fma_f64 v[12:13], v[82:83], s[88:89], -v[16:17]
	v_fma_f64 v[16:17], v[82:83], s[88:89], v[16:17]
	v_fma_f64 v[14:15], v[84:85], s[88:89], v[18:19]
	v_fma_f64 v[18:19], v[84:85], s[88:89], -v[18:19]
	v_fma_f64 v[20:21], v[82:83], vcc, -v[24:25]
	v_fma_f64 v[24:25], v[82:83], vcc, v[24:25]
	v_add_f64 v[12:13], v[12:13], v[32:33]
	v_add_f64 v[16:17], v[16:17], v[26:27]
	v_mul_f64 v[26:27], v[86:87], s[4:5]
	v_mul_f64 v[32:33], v[88:89], s[14:15]
	v_add_f64 v[18:19], v[18:19], v[34:35]
	v_mul_f64 v[34:35], v[86:87], s[14:15]
	v_add_f64 v[14:15], v[14:15], v[40:41]
	v_add_f64 v[20:21], v[20:21], v[42:43]
	v_mul_f64 v[40:41], v[88:89], s[68:69]
	v_mul_f64 v[42:43], v[86:87], s[68:69]
	v_fma_f64 v[22:23], v[84:85], vcc, v[26:27]
	v_fma_f64 v[28:29], v[82:83], s[12:13], -v[32:33]
	v_fma_f64 v[26:27], v[84:85], vcc, -v[26:27]
	v_fma_f64 v[32:33], v[82:83], s[12:13], v[32:33]
	v_fma_f64 v[30:31], v[84:85], s[12:13], v[34:35]
	v_add_f64 v[24:25], v[24:25], v[38:39]
	v_fma_f64 v[36:37], v[82:83], s[10:11], -v[40:41]
	v_fma_f64 v[38:39], v[84:85], s[10:11], v[42:43]
	v_add_f64 v[22:23], v[22:23], v[50:51]
	v_add_f64 v[28:29], v[28:29], v[52:53]
	v_mul_f64 v[50:51], v[88:89], s[34:35]
	v_mul_f64 v[52:53], v[86:87], s[34:35]
	v_add_f64 v[26:27], v[26:27], v[46:47]
	v_add_f64 v[32:33], v[32:33], v[48:49]
	v_fma_f64 v[34:35], v[84:85], s[12:13], -v[34:35]
	v_fma_f64 v[40:41], v[82:83], s[10:11], v[40:41]
	v_fma_f64 v[42:43], v[84:85], s[10:11], -v[42:43]
	v_add_f64 v[30:31], v[30:31], v[58:59]
	v_fma_f64 v[46:47], v[82:83], s[8:9], -v[50:51]
	v_fma_f64 v[48:49], v[84:85], s[8:9], v[52:53]
	v_fma_f64 v[50:51], v[82:83], s[8:9], v[50:51]
	v_fma_f64 v[52:53], v[84:85], s[8:9], -v[52:53]
	v_add_f64 v[36:37], v[36:37], v[60:61]
	v_add_f64 v[38:39], v[38:39], v[72:73]
	;; [unrolled: 1-line block ×9, first 2 shown]
	ds_write_b128 v62, v[0:3]
	ds_write_b128 v62, v[4:7] offset:16
	ds_write_b128 v62, v[12:15] offset:32
	;; [unrolled: 1-line block ×12, first 2 shown]
	s_waitcnt lgkmcnt(0)
	; wave barrier
	s_waitcnt lgkmcnt(0)
	ds_read_b128 v[0:3], v62
	ds_read_b128 v[4:7], v62 offset:16
	ds_read_b128 v[8:11], v62 offset:32
	;; [unrolled: 1-line block ×3, first 2 shown]
	v_readlane_b32 s4, v110, 6
	s_waitcnt lgkmcnt(3)
	v_mul_f64 v[16:17], v[2:3], s[58:59]
	v_readlane_b32 s5, v110, 7
	v_fma_f64 v[16:17], v[0:1], s[56:57], -v[16:17]
	v_mul_f64 v[0:1], v[0:1], s[58:59]
	v_fma_f64 v[18:19], v[2:3], s[56:57], v[0:1]
	s_waitcnt lgkmcnt(2)
	v_mul_f64 v[0:1], v[6:7], s[62:63]
	v_mul_f64 v[2:3], v[4:5], s[62:63]
	ds_write_b128 v62, v[16:19]
	v_fma_f64 v[0:1], v[4:5], s[60:61], -v[0:1]
	v_fma_f64 v[2:3], v[6:7], s[60:61], v[2:3]
	ds_write_b128 v62, v[0:3] offset:16
	s_waitcnt lgkmcnt(3)
	v_mul_f64 v[0:1], v[10:11], s[66:67]
	v_mul_f64 v[2:3], v[8:9], s[66:67]
	v_fma_f64 v[0:1], v[8:9], s[64:65], -v[0:1]
	v_fma_f64 v[2:3], v[10:11], s[64:65], v[2:3]
	s_load_dwordx16 s[56:71], s[4:5], 0x100
	ds_write_b128 v62, v[0:3] offset:32
	s_waitcnt lgkmcnt(0)
	v_mul_f64 v[0:1], v[14:15], s[58:59]
	v_mul_f64 v[2:3], v[12:13], s[58:59]
	v_fma_f64 v[0:1], v[12:13], s[56:57], -v[0:1]
	v_fma_f64 v[2:3], v[14:15], s[56:57], v[2:3]
	ds_write_b128 v62, v[0:3] offset:48
	ds_read_b128 v[0:3], v62 offset:64
	s_waitcnt lgkmcnt(0)
	v_mul_f64 v[4:5], v[2:3], s[62:63]
	v_fma_f64 v[4:5], v[0:1], s[60:61], -v[4:5]
	v_mul_f64 v[0:1], v[0:1], s[62:63]
	v_fma_f64 v[6:7], v[2:3], s[60:61], v[0:1]
	ds_read_b128 v[0:3], v62 offset:80
	ds_write_b128 v62, v[4:7] offset:64
	s_waitcnt lgkmcnt(1)
	v_mul_f64 v[4:5], v[2:3], s[66:67]
	v_fma_f64 v[4:5], v[0:1], s[64:65], -v[4:5]
	v_mul_f64 v[0:1], v[0:1], s[66:67]
	v_fma_f64 v[6:7], v[2:3], s[64:65], v[0:1]
	ds_read_b128 v[0:3], v62 offset:96
	ds_write_b128 v62, v[4:7] offset:80
	s_waitcnt lgkmcnt(1)
	v_mul_f64 v[4:5], v[2:3], s[70:71]
	v_fma_f64 v[4:5], v[0:1], s[68:69], -v[4:5]
	v_mul_f64 v[0:1], v[0:1], s[70:71]
	v_fma_f64 v[6:7], v[2:3], s[68:69], v[0:1]
	ds_read_b128 v[0:3], v62 offset:112
	s_load_dwordx16 s[56:71], s[4:5], 0x140
	ds_write_b128 v62, v[4:7] offset:96
	s_waitcnt lgkmcnt(0)
	v_mul_f64 v[4:5], v[2:3], s[58:59]
	v_fma_f64 v[4:5], v[0:1], s[56:57], -v[4:5]
	v_mul_f64 v[0:1], v[0:1], s[58:59]
	v_fma_f64 v[6:7], v[2:3], s[56:57], v[0:1]
	ds_read_b128 v[0:3], v62 offset:128
	ds_write_b128 v62, v[4:7] offset:112
	s_waitcnt lgkmcnt(1)
	v_mul_f64 v[4:5], v[2:3], s[62:63]
	v_fma_f64 v[4:5], v[0:1], s[60:61], -v[4:5]
	v_mul_f64 v[0:1], v[0:1], s[62:63]
	v_fma_f64 v[6:7], v[2:3], s[60:61], v[0:1]
	ds_read_b128 v[0:3], v62 offset:144
	s_load_dwordx8 s[56:63], s[4:5], 0x180
	s_mov_b32 s4, 0x24c2f84
	s_mov_b32 s5, 0xbfe5384d
	ds_write_b128 v62, v[4:7] offset:128
	s_waitcnt lgkmcnt(0)
	v_mul_f64 v[4:5], v[2:3], s[66:67]
	v_fma_f64 v[4:5], v[0:1], s[64:65], -v[4:5]
	v_mul_f64 v[0:1], v[0:1], s[66:67]
	v_fma_f64 v[6:7], v[2:3], s[64:65], v[0:1]
	ds_read_b128 v[0:3], v62 offset:160
	ds_write_b128 v62, v[4:7] offset:144
	s_waitcnt lgkmcnt(1)
	v_mul_f64 v[4:5], v[2:3], s[70:71]
	v_fma_f64 v[4:5], v[0:1], s[68:69], -v[4:5]
	v_mul_f64 v[0:1], v[0:1], s[70:71]
	v_fma_f64 v[6:7], v[2:3], s[68:69], v[0:1]
	ds_read_b128 v[0:3], v62 offset:176
	ds_write_b128 v62, v[4:7] offset:160
	s_waitcnt lgkmcnt(1)
	v_mul_f64 v[4:5], v[2:3], s[58:59]
	v_fma_f64 v[4:5], v[0:1], s[56:57], -v[4:5]
	v_mul_f64 v[0:1], v[0:1], s[58:59]
	s_mov_b32 s58, 0x2ef20147
	s_mov_b32 s59, 0xbfedeba7
	v_fma_f64 v[6:7], v[2:3], s[56:57], v[0:1]
	ds_read_b128 v[0:3], v62 offset:192
	s_mov_b32 s56, 0x4267c47c
	s_mov_b32 s57, 0xbfddbe06
	ds_write_b128 v62, v[4:7] offset:176
	s_waitcnt lgkmcnt(1)
	v_mul_f64 v[4:5], v[2:3], s[62:63]
	v_fma_f64 v[4:5], v[0:1], s[60:61], -v[4:5]
	v_mul_f64 v[0:1], v[0:1], s[62:63]
	s_mov_b32 s62, 0x4267c47c
	s_mov_b32 s63, 0xbfddbe06
	v_fma_f64 v[6:7], v[2:3], s[60:61], v[0:1]
	s_mov_b32 s60, 0x42a4c3d2
	s_mov_b32 s61, 0xbfea55e2
	ds_write_b128 v62, v[4:7] offset:192
	s_waitcnt lgkmcnt(0)
	; wave barrier
	s_waitcnt lgkmcnt(0)
	ds_read_b128 v[36:39], v62
	ds_read_b128 v[40:43], v62 offset:16
	ds_read_b128 v[46:49], v62 offset:32
	ds_read_b128 v[28:31], v62 offset:48
	ds_read_b128 v[20:23], v62 offset:64
	ds_read_b128 v[12:15], v62 offset:80
	ds_read_b128 v[4:7], v62 offset:96
	ds_read_b128 v[8:11], v62 offset:112
	ds_read_b128 v[16:19], v62 offset:128
	ds_read_b128 v[24:27], v62 offset:144
	ds_read_b128 v[32:35], v62 offset:160
	ds_read_b128 v[50:53], v62 offset:176
	ds_read_b128 v[54:57], v62 offset:192
	s_waitcnt lgkmcnt(11)
	v_add_f64 v[0:1], v[36:37], v[40:41]
	v_add_f64 v[2:3], v[38:39], v[42:43]
	s_waitcnt lgkmcnt(0)
	v_add_f64 v[60:61], v[42:43], v[56:57]
	v_add_f64 v[58:59], v[40:41], v[54:55]
	v_add_f64 v[40:41], v[40:41], -v[54:55]
	v_add_f64 v[42:43], v[42:43], -v[56:57]
	v_add_f64 v[0:1], v[0:1], v[46:47]
	v_add_f64 v[2:3], v[2:3], v[48:49]
	v_mul_f64 v[70:71], v[60:61], s[88:89]
	v_mul_f64 v[78:79], v[60:61], s[12:13]
	;; [unrolled: 1-line block ×4, first 2 shown]
	v_add_f64 v[0:1], v[0:1], v[28:29]
	v_add_f64 v[2:3], v[2:3], v[30:31]
	v_mul_f64 v[98:99], v[42:43], s[4:5]
	v_mul_f64 v[94:95], v[60:61], s[10:11]
	v_fma_f64 v[72:73], v[40:41], s[0:1], v[70:71]
	v_fma_f64 v[70:71], v[40:41], s[56:57], v[70:71]
	;; [unrolled: 1-line block ×4, first 2 shown]
	v_add_f64 v[0:1], v[0:1], v[20:21]
	v_add_f64 v[2:3], v[2:3], v[22:23]
	v_fma_f64 v[90:91], v[58:59], s[10:11], -v[90:91]
	v_fma_f64 v[100:101], v[58:59], vcc, v[98:99]
	v_mul_f64 v[102:103], v[60:61], vcc
	v_fma_f64 v[98:99], v[58:59], vcc, -v[98:99]
	v_mul_f64 v[60:61], v[60:61], s[2:3]
	v_fma_f64 v[88:89], v[40:41], s[34:35], v[86:87]
	v_add_f64 v[0:1], v[0:1], v[12:13]
	v_add_f64 v[2:3], v[2:3], v[14:15]
	;; [unrolled: 1-line block ×3, first 2 shown]
	v_fma_f64 v[96:97], v[40:41], s[90:91], v[94:95]
	v_add_f64 v[90:91], v[36:37], v[90:91]
	v_fma_f64 v[94:95], v[40:41], s[58:59], v[94:95]
	v_add_f64 v[100:101], v[36:37], v[100:101]
	;; [unrolled: 2-line block ×3, first 2 shown]
	v_add_f64 v[2:3], v[2:3], v[6:7]
	v_add_f64 v[98:99], v[36:37], v[98:99]
	v_fma_f64 v[102:103], v[40:41], s[4:5], v[102:103]
	v_fma_f64 v[108:109], v[40:41], s[92:93], v[60:61]
	v_add_f64 v[72:73], v[38:39], v[72:73]
	v_add_f64 v[70:71], v[38:39], v[70:71]
	;; [unrolled: 1-line block ×20, first 2 shown]
	v_mul_f64 v[54:55], v[42:43], s[56:57]
	s_mov_b32 s56, 0x42a4c3d2
	s_mov_b32 s57, 0xbfea55e2
	v_mul_f64 v[74:75], v[42:43], s[56:57]
	v_fma_f64 v[78:79], v[40:41], s[56:57], v[78:79]
	s_mov_b32 s56, 0x66966769
	s_mov_b32 s57, 0xbfefc445
	v_mul_f64 v[82:83], v[42:43], s[56:57]
	v_mul_f64 v[42:43], v[42:43], s[6:7]
	v_add_f64 v[2:3], v[2:3], v[56:57]
	v_fma_f64 v[56:57], v[58:59], s[88:89], v[54:55]
	v_fma_f64 v[54:55], v[58:59], s[88:89], -v[54:55]
	v_fma_f64 v[76:77], v[58:59], s[12:13], v[74:75]
	v_fma_f64 v[74:75], v[58:59], s[12:13], -v[74:75]
	v_fma_f64 v[86:87], v[40:41], s[56:57], v[86:87]
	v_fma_f64 v[84:85], v[58:59], s[8:9], v[82:83]
	v_fma_f64 v[82:83], v[58:59], s[8:9], -v[82:83]
	v_fma_f64 v[106:107], v[58:59], s[2:3], v[42:43]
	v_fma_f64 v[42:43], v[58:59], s[2:3], -v[42:43]
	v_add_f64 v[56:57], v[36:37], v[56:57]
	v_add_f64 v[54:55], v[36:37], v[54:55]
	;; [unrolled: 1-line block ×8, first 2 shown]
	v_fma_f64 v[40:41], v[40:41], s[6:7], v[60:61]
	v_add_f64 v[42:43], v[48:49], v[52:53]
	v_add_f64 v[48:49], v[48:49], -v[52:53]
	v_add_f64 v[78:79], v[38:39], v[78:79]
	v_add_f64 v[86:87], v[38:39], v[86:87]
	;; [unrolled: 1-line block ×4, first 2 shown]
	v_add_f64 v[46:47], v[46:47], -v[50:51]
	v_mul_f64 v[50:51], v[48:49], s[60:61]
	v_fma_f64 v[52:53], v[40:41], s[12:13], v[50:51]
	v_fma_f64 v[50:51], v[40:41], s[12:13], -v[50:51]
	v_add_f64 v[52:53], v[52:53], v[56:57]
	v_mul_f64 v[56:57], v[42:43], s[12:13]
	v_add_f64 v[50:51], v[50:51], v[54:55]
	v_fma_f64 v[58:59], v[46:47], s[14:15], v[56:57]
	v_fma_f64 v[54:55], v[46:47], s[60:61], v[56:57]
	v_mul_f64 v[56:57], v[48:49], s[58:59]
	v_add_f64 v[58:59], v[58:59], v[72:73]
	v_add_f64 v[54:55], v[54:55], v[70:71]
	v_fma_f64 v[60:61], v[40:41], s[10:11], v[56:57]
	v_fma_f64 v[56:57], v[40:41], s[10:11], -v[56:57]
	v_mul_f64 v[70:71], v[42:43], s[10:11]
	v_add_f64 v[60:61], v[60:61], v[76:77]
	v_add_f64 v[56:57], v[56:57], v[74:75]
	v_mul_f64 v[74:75], v[48:49], s[6:7]
	v_fma_f64 v[72:73], v[46:47], s[90:91], v[70:71]
	v_fma_f64 v[70:71], v[46:47], s[58:59], v[70:71]
	v_fma_f64 v[76:77], v[40:41], s[2:3], v[74:75]
	v_fma_f64 v[74:75], v[40:41], s[2:3], -v[74:75]
	v_add_f64 v[70:71], v[70:71], v[78:79]
	v_mul_f64 v[78:79], v[42:43], s[2:3]
	v_add_f64 v[72:73], v[72:73], v[80:81]
	v_add_f64 v[76:77], v[76:77], v[84:85]
	v_add_f64 v[74:75], v[74:75], v[82:83]
	v_mul_f64 v[82:83], v[48:49], s[94:95]
	v_fma_f64 v[80:81], v[46:47], s[92:93], v[78:79]
	v_fma_f64 v[78:79], v[46:47], s[6:7], v[78:79]
	v_fma_f64 v[84:85], v[40:41], vcc, v[82:83]
	v_fma_f64 v[82:83], v[40:41], vcc, -v[82:83]
	v_add_f64 v[78:79], v[78:79], v[86:87]
	v_mul_f64 v[86:87], v[42:43], vcc
	v_add_f64 v[80:81], v[80:81], v[88:89]
	v_add_f64 v[84:85], v[84:85], v[92:93]
	v_add_f64 v[82:83], v[82:83], v[90:91]
	v_mul_f64 v[90:91], v[48:49], s[34:35]
	v_fma_f64 v[88:89], v[46:47], s[4:5], v[86:87]
	v_fma_f64 v[86:87], v[46:47], s[94:95], v[86:87]
	v_mul_f64 v[48:49], v[48:49], s[0:1]
	v_fma_f64 v[92:93], v[40:41], s[8:9], v[90:91]
	v_fma_f64 v[90:91], v[40:41], s[8:9], -v[90:91]
	v_add_f64 v[86:87], v[86:87], v[94:95]
	v_mul_f64 v[94:95], v[42:43], s[8:9]
	v_mul_f64 v[42:43], v[42:43], s[88:89]
	v_add_f64 v[88:89], v[88:89], v[96:97]
	v_add_f64 v[92:93], v[92:93], v[100:101]
	;; [unrolled: 1-line block ×3, first 2 shown]
	v_fma_f64 v[98:99], v[40:41], s[88:89], v[48:49]
	v_fma_f64 v[40:41], v[40:41], s[88:89], -v[48:49]
	v_fma_f64 v[100:101], v[46:47], s[62:63], v[42:43]
	v_fma_f64 v[96:97], v[46:47], s[56:57], v[94:95]
	;; [unrolled: 1-line block ×3, first 2 shown]
	v_add_f64 v[98:99], v[98:99], v[106:107]
	v_add_f64 v[36:37], v[40:41], v[36:37]
	v_fma_f64 v[40:41], v[46:47], s[0:1], v[42:43]
	v_add_f64 v[42:43], v[30:31], v[34:35]
	v_add_f64 v[30:31], v[30:31], -v[34:35]
	v_add_f64 v[94:95], v[94:95], v[102:103]
	v_add_f64 v[96:97], v[96:97], v[104:105]
	v_add_f64 v[100:101], v[100:101], v[108:109]
	v_add_f64 v[38:39], v[40:41], v[38:39]
	v_add_f64 v[40:41], v[28:29], v[32:33]
	v_add_f64 v[28:29], v[28:29], -v[32:33]
	v_mul_f64 v[32:33], v[30:31], s[56:57]
	v_mul_f64 v[46:47], v[42:43], s[8:9]
	v_fma_f64 v[34:35], v[40:41], s[8:9], v[32:33]
	v_fma_f64 v[32:33], v[40:41], s[8:9], -v[32:33]
	v_fma_f64 v[48:49], v[28:29], s[34:35], v[46:47]
	v_fma_f64 v[46:47], v[28:29], s[56:57], v[46:47]
	v_add_f64 v[34:35], v[34:35], v[52:53]
	v_add_f64 v[32:33], v[32:33], v[50:51]
	v_mul_f64 v[50:51], v[30:31], s[6:7]
	v_add_f64 v[46:47], v[46:47], v[54:55]
	v_mul_f64 v[54:55], v[42:43], s[2:3]
	v_add_f64 v[48:49], v[48:49], v[58:59]
	v_fma_f64 v[52:53], v[40:41], s[2:3], v[50:51]
	v_fma_f64 v[50:51], v[40:41], s[2:3], -v[50:51]
	v_fma_f64 v[58:59], v[28:29], s[92:93], v[54:55]
	v_fma_f64 v[54:55], v[28:29], s[6:7], v[54:55]
	v_add_f64 v[52:53], v[52:53], v[60:61]
	v_add_f64 v[50:51], v[50:51], v[56:57]
	v_mul_f64 v[56:57], v[30:31], s[90:91]
	v_add_f64 v[54:55], v[54:55], v[70:71]
	v_mul_f64 v[70:71], v[42:43], s[10:11]
	v_add_f64 v[58:59], v[58:59], v[72:73]
	;; [unrolled: 10-line block ×3, first 2 shown]
	v_fma_f64 v[76:77], v[40:41], s[88:89], v[74:75]
	v_fma_f64 v[74:75], v[40:41], s[88:89], -v[74:75]
	v_fma_f64 v[80:81], v[28:29], s[62:63], v[78:79]
	v_fma_f64 v[78:79], v[28:29], s[0:1], v[78:79]
	v_add_f64 v[76:77], v[76:77], v[84:85]
	v_add_f64 v[74:75], v[74:75], v[82:83]
	v_mul_f64 v[82:83], v[30:31], s[60:61]
	v_add_f64 v[78:79], v[78:79], v[86:87]
	v_mul_f64 v[86:87], v[42:43], s[12:13]
	v_mul_f64 v[42:43], v[42:43], vcc
	v_add_f64 v[80:81], v[80:81], v[88:89]
	v_mul_f64 v[30:31], v[30:31], s[4:5]
	v_fma_f64 v[84:85], v[40:41], s[12:13], v[82:83]
	v_fma_f64 v[82:83], v[40:41], s[12:13], -v[82:83]
	v_fma_f64 v[88:89], v[28:29], s[14:15], v[86:87]
	v_fma_f64 v[86:87], v[28:29], s[60:61], v[86:87]
	v_add_f64 v[84:85], v[84:85], v[92:93]
	v_fma_f64 v[92:93], v[28:29], s[94:95], v[42:43]
	v_fma_f64 v[28:29], v[28:29], s[4:5], v[42:43]
	v_add_f64 v[82:83], v[82:83], v[90:91]
	v_fma_f64 v[90:91], v[40:41], vcc, v[30:31]
	v_fma_f64 v[30:31], v[40:41], vcc, -v[30:31]
	v_add_f64 v[86:87], v[86:87], v[94:95]
	v_add_f64 v[88:89], v[88:89], v[96:97]
	;; [unrolled: 1-line block ×5, first 2 shown]
	v_add_f64 v[22:23], v[22:23], -v[26:27]
	v_add_f64 v[30:31], v[30:31], v[36:37]
	v_add_f64 v[36:37], v[20:21], v[24:25]
	v_add_f64 v[20:21], v[20:21], -v[24:25]
	v_add_f64 v[90:91], v[90:91], v[98:99]
	v_mul_f64 v[24:25], v[22:23], s[58:59]
	v_fma_f64 v[26:27], v[36:37], s[10:11], v[24:25]
	v_fma_f64 v[24:25], v[36:37], s[10:11], -v[24:25]
	v_add_f64 v[26:27], v[26:27], v[34:35]
	v_mul_f64 v[34:35], v[38:39], s[10:11]
	v_add_f64 v[24:25], v[24:25], v[32:33]
	v_fma_f64 v[40:41], v[20:21], s[90:91], v[34:35]
	v_fma_f64 v[32:33], v[20:21], s[58:59], v[34:35]
	v_mul_f64 v[34:35], v[22:23], s[94:95]
	v_add_f64 v[40:41], v[40:41], v[48:49]
	v_add_f64 v[32:33], v[32:33], v[46:47]
	v_fma_f64 v[42:43], v[36:37], vcc, v[34:35]
	v_mul_f64 v[46:47], v[38:39], vcc
	v_fma_f64 v[34:35], v[36:37], vcc, -v[34:35]
	v_add_f64 v[42:43], v[42:43], v[52:53]
	v_fma_f64 v[48:49], v[20:21], s[4:5], v[46:47]
	v_add_f64 v[34:35], v[34:35], v[50:51]
	v_fma_f64 v[46:47], v[20:21], s[94:95], v[46:47]
	v_mul_f64 v[50:51], v[22:23], s[0:1]
	v_add_f64 v[48:49], v[48:49], v[58:59]
	v_add_f64 v[46:47], v[46:47], v[54:55]
	v_fma_f64 v[52:53], v[36:37], s[88:89], v[50:51]
	v_mul_f64 v[54:55], v[38:39], s[88:89]
	v_fma_f64 v[50:51], v[36:37], s[88:89], -v[50:51]
	v_add_f64 v[52:53], v[52:53], v[60:61]
	v_fma_f64 v[58:59], v[20:21], s[62:63], v[54:55]
	v_add_f64 v[50:51], v[50:51], v[56:57]
	v_fma_f64 v[54:55], v[20:21], s[0:1], v[54:55]
	v_mul_f64 v[56:57], v[22:23], s[56:57]
	v_add_f64 v[58:59], v[58:59], v[72:73]
	v_add_f64 v[54:55], v[54:55], v[70:71]
	v_fma_f64 v[60:61], v[36:37], s[8:9], v[56:57]
	v_mul_f64 v[70:71], v[38:39], s[8:9]
	v_fma_f64 v[56:57], v[36:37], s[8:9], -v[56:57]
	v_add_f64 v[60:61], v[60:61], v[76:77]
	v_fma_f64 v[72:73], v[20:21], s[34:35], v[70:71]
	v_add_f64 v[56:57], v[56:57], v[74:75]
	v_fma_f64 v[70:71], v[20:21], s[56:57], v[70:71]
	v_mul_f64 v[74:75], v[22:23], s[92:93]
	v_mul_f64 v[22:23], v[22:23], s[14:15]
	v_add_f64 v[72:73], v[72:73], v[80:81]
	v_add_f64 v[70:71], v[70:71], v[78:79]
	v_fma_f64 v[76:77], v[36:37], s[2:3], v[74:75]
	v_mul_f64 v[78:79], v[38:39], s[2:3]
	v_fma_f64 v[74:75], v[36:37], s[2:3], -v[74:75]
	v_mul_f64 v[38:39], v[38:39], s[12:13]
	v_add_f64 v[76:77], v[76:77], v[84:85]
	v_fma_f64 v[80:81], v[20:21], s[6:7], v[78:79]
	v_add_f64 v[74:75], v[74:75], v[82:83]
	v_fma_f64 v[78:79], v[20:21], s[92:93], v[78:79]
	v_fma_f64 v[82:83], v[36:37], s[12:13], v[22:23]
	;; [unrolled: 1-line block ×3, first 2 shown]
	v_fma_f64 v[22:23], v[36:37], s[12:13], -v[22:23]
	v_fma_f64 v[20:21], v[20:21], s[14:15], v[38:39]
	v_add_f64 v[36:37], v[14:15], v[18:19]
	v_add_f64 v[14:15], v[14:15], -v[18:19]
	v_add_f64 v[80:81], v[80:81], v[88:89]
	v_add_f64 v[78:79], v[78:79], v[86:87]
	;; [unrolled: 1-line block ×7, first 2 shown]
	v_add_f64 v[12:13], v[12:13], -v[16:17]
	v_mul_f64 v[16:17], v[14:15], s[4:5]
	v_fma_f64 v[18:19], v[28:29], vcc, v[16:17]
	v_fma_f64 v[16:17], v[28:29], vcc, -v[16:17]
	v_add_f64 v[18:19], v[18:19], v[26:27]
	v_mul_f64 v[26:27], v[36:37], vcc
	v_add_f64 v[16:17], v[16:17], v[24:25]
	v_fma_f64 v[30:31], v[12:13], s[94:95], v[26:27]
	v_fma_f64 v[24:25], v[12:13], s[4:5], v[26:27]
	v_mul_f64 v[26:27], v[14:15], s[34:35]
	v_add_f64 v[86:87], v[30:31], v[40:41]
	v_add_f64 v[24:25], v[24:25], v[32:33]
	v_fma_f64 v[30:31], v[28:29], s[8:9], v[26:27]
	v_fma_f64 v[26:27], v[28:29], s[8:9], -v[26:27]
	v_add_f64 v[88:89], v[30:31], v[42:43]
	v_mul_f64 v[30:31], v[36:37], s[8:9]
	v_add_f64 v[26:27], v[26:27], v[34:35]
	v_fma_f64 v[32:33], v[12:13], s[56:57], v[30:31]
	v_fma_f64 v[30:31], v[12:13], s[34:35], v[30:31]
	v_add_f64 v[90:91], v[32:33], v[48:49]
	v_add_f64 v[92:93], v[30:31], v[46:47]
	v_mul_f64 v[30:31], v[14:15], s[60:61]
	v_fma_f64 v[32:33], v[28:29], s[12:13], v[30:31]
	v_fma_f64 v[30:31], v[28:29], s[12:13], -v[30:31]
	v_add_f64 v[94:95], v[32:33], v[52:53]
	v_mul_f64 v[32:33], v[36:37], s[12:13]
	v_add_f64 v[98:99], v[30:31], v[50:51]
	v_fma_f64 v[34:35], v[12:13], s[14:15], v[32:33]
	v_fma_f64 v[30:31], v[12:13], s[60:61], v[32:33]
	v_mul_f64 v[32:33], v[14:15], s[92:93]
	v_add_f64 v[96:97], v[34:35], v[58:59]
	v_add_f64 v[100:101], v[30:31], v[54:55]
	v_fma_f64 v[30:31], v[28:29], s[2:3], v[32:33]
	v_mul_f64 v[34:35], v[36:37], s[2:3]
	v_fma_f64 v[32:33], v[28:29], s[2:3], -v[32:33]
	v_add_f64 v[58:59], v[6:7], -v[10:11]
	v_add_f64 v[54:55], v[4:5], -v[8:9]
	v_add_f64 v[102:103], v[30:31], v[60:61]
	v_fma_f64 v[30:31], v[12:13], s[6:7], v[34:35]
	v_add_f64 v[60:61], v[32:33], v[56:57]
	v_fma_f64 v[32:33], v[12:13], s[92:93], v[34:35]
	v_add_f64 v[56:57], v[6:7], v[10:11]
	v_add_f64 v[30:31], v[30:31], v[72:73]
	;; [unrolled: 1-line block ×3, first 2 shown]
	v_mul_f64 v[32:33], v[14:15], s[0:1]
	v_mul_f64 v[14:15], v[14:15], s[58:59]
	;; [unrolled: 1-line block ×5, first 2 shown]
	v_fma_f64 v[34:35], v[28:29], s[88:89], v[32:33]
	v_fma_f64 v[32:33], v[28:29], s[88:89], -v[32:33]
	v_fma_f64 v[6:7], v[54:55], s[92:93], v[10:11]
	v_fma_f64 v[10:11], v[54:55], s[6:7], v[10:11]
	v_add_f64 v[50:51], v[34:35], v[76:77]
	v_mul_f64 v[34:35], v[36:37], s[88:89]
	v_add_f64 v[46:47], v[32:33], v[74:75]
	v_fma_f64 v[74:75], v[54:55], s[60:61], v[72:73]
	v_add_f64 v[6:7], v[6:7], v[86:87]
	v_add_f64 v[10:11], v[10:11], v[24:25]
	v_mul_f64 v[24:25], v[58:59], s[4:5]
	v_fma_f64 v[38:39], v[12:13], s[62:63], v[34:35]
	v_fma_f64 v[32:33], v[12:13], s[0:1], v[34:35]
	v_add_f64 v[30:31], v[74:75], v[30:31]
	v_mul_f64 v[74:75], v[56:57], s[10:11]
	v_add_f64 v[42:43], v[38:39], v[80:81]
	v_add_f64 v[38:39], v[4:5], v[8:9]
	;; [unrolled: 1-line block ×3, first 2 shown]
	v_fma_f64 v[32:33], v[28:29], s[10:11], v[14:15]
	v_fma_f64 v[14:15], v[28:29], s[10:11], -v[14:15]
	v_mul_f64 v[8:9], v[58:59], s[6:7]
	v_fma_f64 v[28:29], v[38:39], s[12:13], v[70:71]
	v_fma_f64 v[70:71], v[38:39], s[12:13], -v[70:71]
	v_add_f64 v[40:41], v[32:33], v[82:83]
	v_mul_f64 v[32:33], v[36:37], s[10:11]
	v_fma_f64 v[4:5], v[38:39], s[2:3], v[8:9]
	v_fma_f64 v[8:9], v[38:39], s[2:3], -v[8:9]
	v_readlane_b32 s2, v110, 0
	v_readlane_b32 s3, v110, 1
	v_add_f64 v[28:29], v[28:29], v[102:103]
	v_add_f64 v[70:71], v[70:71], v[60:61]
	v_fma_f64 v[60:61], v[54:55], s[14:15], v[72:73]
	v_fma_f64 v[34:35], v[12:13], s[90:91], v[32:33]
	;; [unrolled: 1-line block ×3, first 2 shown]
	v_add_f64 v[8:9], v[8:9], v[16:17]
	v_mul_f64 v[16:17], v[58:59], s[0:1]
	v_add_f64 v[4:5], v[4:5], v[18:19]
	v_mul_f64 v[18:19], v[56:57], s[88:89]
	;; [unrolled: 2-line block ×4, first 2 shown]
	v_fma_f64 v[12:13], v[38:39], s[88:89], v[16:17]
	v_fma_f64 v[16:17], v[38:39], s[88:89], -v[16:17]
	v_add_f64 v[36:37], v[34:35], v[84:85]
	v_add_f64 v[34:35], v[14:15], v[22:23]
	v_fma_f64 v[14:15], v[54:55], s[62:63], v[18:19]
	v_fma_f64 v[52:53], v[38:39], s[10:11], v[60:61]
	v_fma_f64 v[20:21], v[38:39], vcc, v[24:25]
	v_fma_f64 v[18:19], v[54:55], s[0:1], v[18:19]
	v_fma_f64 v[24:25], v[38:39], vcc, -v[24:25]
	v_add_f64 v[16:17], v[16:17], v[26:27]
	v_mul_f64 v[26:27], v[56:57], vcc
	v_mul_f64 v[56:57], v[56:57], s[8:9]
	v_add_f64 v[12:13], v[12:13], v[88:89]
	v_add_f64 v[50:51], v[52:53], v[50:51]
	v_fma_f64 v[52:53], v[54:55], s[90:91], v[74:75]
	v_add_f64 v[14:15], v[14:15], v[90:91]
	v_add_f64 v[20:21], v[20:21], v[94:95]
	v_add_f64 v[18:19], v[18:19], v[92:93]
	v_fma_f64 v[22:23], v[54:55], s[94:95], v[26:27]
	v_fma_f64 v[26:27], v[54:55], s[4:5], v[26:27]
	v_add_f64 v[24:25], v[24:25], v[98:99]
	s_mov_b32 s0, 0x13b13b14
	v_add_f64 v[52:53], v[52:53], v[42:43]
	v_fma_f64 v[42:43], v[38:39], s[10:11], -v[60:61]
	s_mov_b32 s1, 0x3fb3b13b
	v_readlane_b32 s4, v110, 2
	v_add_f64 v[22:23], v[22:23], v[96:97]
	v_add_f64 v[26:27], v[26:27], v[100:101]
	v_readlane_b32 s5, v110, 3
	v_readlane_b32 s6, v110, 4
	v_readlane_b32 s7, v110, 5
	v_add_f64 v[46:47], v[42:43], v[46:47]
	v_fma_f64 v[42:43], v[54:55], s[58:59], v[74:75]
	v_add_f64 v[48:49], v[42:43], v[48:49]
	v_fma_f64 v[42:43], v[38:39], s[8:9], v[58:59]
	;; [unrolled: 2-line block ×3, first 2 shown]
	v_add_f64 v[42:43], v[42:43], v[36:37]
	v_fma_f64 v[36:37], v[38:39], s[8:9], -v[58:59]
	v_add_f64 v[34:35], v[36:37], v[34:35]
	v_fma_f64 v[36:37], v[54:55], s[34:35], v[56:57]
	v_add_f64 v[36:37], v[36:37], v[32:33]
	ds_write_b128 v62, v[0:3]
	ds_write_b128 v62, v[4:7] offset:16
	ds_write_b128 v62, v[12:15] offset:32
	;; [unrolled: 1-line block ×12, first 2 shown]
	s_waitcnt lgkmcnt(0)
	; wave barrier
	s_waitcnt lgkmcnt(0)
	ds_read_b128 v[0:3], v62
	ds_read_b128 v[4:7], v62 offset:16
	ds_read_b128 v[8:11], v62 offset:32
	;; [unrolled: 1-line block ×3, first 2 shown]
	s_waitcnt lgkmcnt(3)
	v_mul_f64 v[16:17], s[38:39], v[2:3]
	v_fma_f64 v[16:17], s[36:37], v[0:1], v[16:17]
	v_mul_f64 v[0:1], s[38:39], v[0:1]
	v_mul_f64 v[16:17], v[16:17], s[0:1]
	v_fma_f64 v[0:1], s[36:37], v[2:3], -v[0:1]
	v_mov_b32_e32 v2, s3
	v_mul_f64 v[18:19], v[0:1], s[0:1]
	v_lshlrev_b64 v[0:1], 4, v[44:45]
	v_add_co_u32_e32 v0, vcc, s2, v0
	v_addc_co_u32_e32 v1, vcc, v2, v1, vcc
	s_waitcnt lgkmcnt(2)
	v_mul_f64 v[2:3], s[42:43], v[6:7]
	s_lshl_b64 s[2:3], s[4:5], 4
	global_store_dwordx4 v[0:1], v[16:19], off
	v_fma_f64 v[2:3], s[40:41], v[4:5], v[2:3]
	v_mul_f64 v[4:5], s[42:43], v[4:5]
	v_mul_f64 v[2:3], v[2:3], s[0:1]
	v_fma_f64 v[4:5], s[40:41], v[6:7], -v[4:5]
	v_add_co_u32_e32 v6, vcc, s2, v0
	v_mov_b32_e32 v7, s3
	v_addc_co_u32_e32 v7, vcc, v1, v7, vcc
	s_lshl_b64 s[2:3], s[4:5], 5
	v_mul_f64 v[4:5], v[4:5], s[0:1]
	global_store_dwordx4 v[6:7], v[2:5], off
	s_waitcnt lgkmcnt(1)
	v_mul_f64 v[2:3], s[46:47], v[10:11]
	v_mul_f64 v[4:5], s[46:47], v[8:9]
	v_add_co_u32_e32 v6, vcc, s2, v0
	v_mov_b32_e32 v7, s3
	v_addc_co_u32_e32 v7, vcc, v1, v7, vcc
	v_fma_f64 v[2:3], s[44:45], v[8:9], v[2:3]
	v_fma_f64 v[4:5], s[44:45], v[10:11], -v[4:5]
	v_mul_f64 v[2:3], v[2:3], s[0:1]
	v_mul_f64 v[4:5], v[4:5], s[0:1]
	global_store_dwordx4 v[6:7], v[2:5], off
	s_waitcnt lgkmcnt(0)
	v_mul_f64 v[2:3], s[50:51], v[14:15]
	v_mul_f64 v[4:5], s[50:51], v[12:13]
	v_mad_u64_u32 v[6:7], s[2:3], s4, 48, v[0:1]
	v_mad_u64_u32 v[7:8], s[2:3], s5, 48, v[7:8]
	v_fma_f64 v[2:3], s[48:49], v[12:13], v[2:3]
	v_fma_f64 v[4:5], s[48:49], v[14:15], -v[4:5]
	s_lshl_b64 s[2:3], s[4:5], 6
	v_mul_f64 v[2:3], v[2:3], s[0:1]
	v_mul_f64 v[4:5], v[4:5], s[0:1]
	global_store_dwordx4 v[6:7], v[2:5], off
	ds_read_b128 v[2:5], v62 offset:64
	s_waitcnt lgkmcnt(0)
	v_mul_f64 v[6:7], s[18:19], v[4:5]
	v_fma_f64 v[6:7], s[16:17], v[2:3], v[6:7]
	v_mul_f64 v[2:3], s[18:19], v[2:3]
	v_mul_f64 v[6:7], v[6:7], s[0:1]
	v_fma_f64 v[2:3], s[16:17], v[4:5], -v[2:3]
	v_mul_f64 v[8:9], v[2:3], s[0:1]
	v_add_co_u32_e32 v2, vcc, s2, v0
	v_mov_b32_e32 v3, s3
	v_addc_co_u32_e32 v3, vcc, v1, v3, vcc
	global_store_dwordx4 v[2:3], v[6:9], off
	ds_read_b128 v[2:5], v62 offset:80
	s_waitcnt lgkmcnt(0)
	v_mul_f64 v[6:7], s[22:23], v[4:5]
	v_fma_f64 v[6:7], s[20:21], v[2:3], v[6:7]
	v_mul_f64 v[2:3], s[22:23], v[2:3]
	v_mul_f64 v[6:7], v[6:7], s[0:1]
	v_fma_f64 v[2:3], s[20:21], v[4:5], -v[2:3]
	v_mul_f64 v[8:9], v[2:3], s[0:1]
	v_mad_u64_u32 v[2:3], s[2:3], s4, v68, v[0:1]
	s_mul_i32 s2, s5, 0x50
	v_add_u32_e32 v3, s2, v3
	global_store_dwordx4 v[2:3], v[6:9], off
	ds_read_b128 v[2:5], v62 offset:96
	s_waitcnt lgkmcnt(0)
	v_mul_f64 v[6:7], s[26:27], v[4:5]
	v_fma_f64 v[6:7], s[24:25], v[2:3], v[6:7]
	v_mul_f64 v[2:3], s[26:27], v[2:3]
	v_mul_f64 v[6:7], v[6:7], s[0:1]
	v_fma_f64 v[2:3], s[24:25], v[4:5], -v[2:3]
	v_mul_f64 v[8:9], v[2:3], s[0:1]
	v_mad_u64_u32 v[2:3], s[2:3], s4, v69, v[0:1]
	s_mul_i32 s2, s5, 0x60
	v_add_u32_e32 v3, s2, v3
	;; [unrolled: 12-line block ×3, first 2 shown]
	s_lshl_b64 s[2:3], s[4:5], 7
	global_store_dwordx4 v[2:3], v[6:9], off
	ds_read_b128 v[2:5], v62 offset:128
	s_waitcnt lgkmcnt(0)
	v_mul_f64 v[6:7], s[74:75], v[4:5]
	v_fma_f64 v[6:7], s[72:73], v[2:3], v[6:7]
	v_mul_f64 v[2:3], s[74:75], v[2:3]
	v_mul_f64 v[6:7], v[6:7], s[0:1]
	v_fma_f64 v[2:3], s[72:73], v[4:5], -v[2:3]
	v_mul_f64 v[8:9], v[2:3], s[0:1]
	v_add_co_u32_e32 v2, vcc, s2, v0
	v_mov_b32_e32 v3, s3
	v_addc_co_u32_e32 v3, vcc, v1, v3, vcc
	global_store_dwordx4 v[2:3], v[6:9], off
	ds_read_b128 v[2:5], v62 offset:144
	s_waitcnt lgkmcnt(0)
	v_mul_f64 v[6:7], s[78:79], v[4:5]
	v_fma_f64 v[6:7], s[76:77], v[2:3], v[6:7]
	v_mul_f64 v[2:3], s[78:79], v[2:3]
	v_mul_f64 v[6:7], v[6:7], s[0:1]
	v_fma_f64 v[2:3], s[76:77], v[4:5], -v[2:3]
	v_mul_f64 v[8:9], v[2:3], s[0:1]
	v_mad_u64_u32 v[2:3], s[2:3], s4, v67, v[0:1]
	s_mul_i32 s2, s5, 0x90
	v_add_u32_e32 v3, s2, v3
	global_store_dwordx4 v[2:3], v[6:9], off
	ds_read_b128 v[2:5], v62 offset:160
	s_waitcnt lgkmcnt(0)
	v_mul_f64 v[6:7], s[82:83], v[4:5]
	v_fma_f64 v[6:7], s[80:81], v[2:3], v[6:7]
	v_mul_f64 v[2:3], s[82:83], v[2:3]
	v_mul_f64 v[6:7], v[6:7], s[0:1]
	v_fma_f64 v[2:3], s[80:81], v[4:5], -v[2:3]
	v_mul_f64 v[8:9], v[2:3], s[0:1]
	v_mad_u64_u32 v[2:3], s[2:3], s4, v66, v[0:1]
	s_mul_i32 s2, s5, 0xa0
	v_add_u32_e32 v3, s2, v3
	;; [unrolled: 12-line block ×4, first 2 shown]
	global_store_dwordx4 v[0:1], v[6:9], off
.LBB0_2:
	s_endpgm
	.section	.rodata,"a",@progbits
	.p2align	6, 0x0
	.amdhsa_kernel bluestein_single_fwd_len13_dim1_dp_op_CI_CI
		.amdhsa_group_segment_fixed_size 13312
		.amdhsa_private_segment_fixed_size 0
		.amdhsa_kernarg_size 104
		.amdhsa_user_sgpr_count 6
		.amdhsa_user_sgpr_private_segment_buffer 1
		.amdhsa_user_sgpr_dispatch_ptr 0
		.amdhsa_user_sgpr_queue_ptr 0
		.amdhsa_user_sgpr_kernarg_segment_ptr 1
		.amdhsa_user_sgpr_dispatch_id 0
		.amdhsa_user_sgpr_flat_scratch_init 0
		.amdhsa_user_sgpr_private_segment_size 0
		.amdhsa_uses_dynamic_stack 0
		.amdhsa_system_sgpr_private_segment_wavefront_offset 0
		.amdhsa_system_sgpr_workgroup_id_x 1
		.amdhsa_system_sgpr_workgroup_id_y 0
		.amdhsa_system_sgpr_workgroup_id_z 0
		.amdhsa_system_sgpr_workgroup_info 0
		.amdhsa_system_vgpr_workitem_id 0
		.amdhsa_next_free_vgpr 111
		.amdhsa_next_free_sgpr 96
		.amdhsa_reserve_vcc 1
		.amdhsa_reserve_flat_scratch 0
		.amdhsa_float_round_mode_32 0
		.amdhsa_float_round_mode_16_64 0
		.amdhsa_float_denorm_mode_32 3
		.amdhsa_float_denorm_mode_16_64 3
		.amdhsa_dx10_clamp 1
		.amdhsa_ieee_mode 1
		.amdhsa_fp16_overflow 0
		.amdhsa_exception_fp_ieee_invalid_op 0
		.amdhsa_exception_fp_denorm_src 0
		.amdhsa_exception_fp_ieee_div_zero 0
		.amdhsa_exception_fp_ieee_overflow 0
		.amdhsa_exception_fp_ieee_underflow 0
		.amdhsa_exception_fp_ieee_inexact 0
		.amdhsa_exception_int_div_zero 0
	.end_amdhsa_kernel
	.text
.Lfunc_end0:
	.size	bluestein_single_fwd_len13_dim1_dp_op_CI_CI, .Lfunc_end0-bluestein_single_fwd_len13_dim1_dp_op_CI_CI
                                        ; -- End function
	.section	.AMDGPU.csdata,"",@progbits
; Kernel info:
; codeLenInByte = 10476
; NumSgprs: 100
; NumVgprs: 111
; ScratchSize: 0
; MemoryBound: 0
; FloatMode: 240
; IeeeMode: 1
; LDSByteSize: 13312 bytes/workgroup (compile time only)
; SGPRBlocks: 12
; VGPRBlocks: 27
; NumSGPRsForWavesPerEU: 100
; NumVGPRsForWavesPerEU: 111
; Occupancy: 1
; WaveLimiterHint : 1
; COMPUTE_PGM_RSRC2:SCRATCH_EN: 0
; COMPUTE_PGM_RSRC2:USER_SGPR: 6
; COMPUTE_PGM_RSRC2:TRAP_HANDLER: 0
; COMPUTE_PGM_RSRC2:TGID_X_EN: 1
; COMPUTE_PGM_RSRC2:TGID_Y_EN: 0
; COMPUTE_PGM_RSRC2:TGID_Z_EN: 0
; COMPUTE_PGM_RSRC2:TIDIG_COMP_CNT: 0
	.type	__hip_cuid_1631b7e9aff2a73c,@object ; @__hip_cuid_1631b7e9aff2a73c
	.section	.bss,"aw",@nobits
	.globl	__hip_cuid_1631b7e9aff2a73c
__hip_cuid_1631b7e9aff2a73c:
	.byte	0                               ; 0x0
	.size	__hip_cuid_1631b7e9aff2a73c, 1

	.ident	"AMD clang version 19.0.0git (https://github.com/RadeonOpenCompute/llvm-project roc-6.4.0 25133 c7fe45cf4b819c5991fe208aaa96edf142730f1d)"
	.section	".note.GNU-stack","",@progbits
	.addrsig
	.addrsig_sym __hip_cuid_1631b7e9aff2a73c
	.amdgpu_metadata
---
amdhsa.kernels:
  - .args:
      - .actual_access:  read_only
        .address_space:  global
        .offset:         0
        .size:           8
        .value_kind:     global_buffer
      - .actual_access:  read_only
        .address_space:  global
        .offset:         8
        .size:           8
        .value_kind:     global_buffer
      - .actual_access:  read_only
        .address_space:  global
        .offset:         16
        .size:           8
        .value_kind:     global_buffer
      - .actual_access:  read_only
        .address_space:  global
        .offset:         24
        .size:           8
        .value_kind:     global_buffer
      - .actual_access:  read_only
        .address_space:  global
        .offset:         32
        .size:           8
        .value_kind:     global_buffer
      - .offset:         40
        .size:           8
        .value_kind:     by_value
      - .address_space:  global
        .offset:         48
        .size:           8
        .value_kind:     global_buffer
      - .address_space:  global
        .offset:         56
        .size:           8
        .value_kind:     global_buffer
      - .address_space:  global
        .offset:         64
        .size:           8
        .value_kind:     global_buffer
      - .address_space:  global
        .offset:         72
        .size:           8
        .value_kind:     global_buffer
      - .offset:         80
        .size:           4
        .value_kind:     by_value
      - .address_space:  global
        .offset:         88
        .size:           8
        .value_kind:     global_buffer
      - .address_space:  global
        .offset:         96
        .size:           8
        .value_kind:     global_buffer
    .group_segment_fixed_size: 13312
    .kernarg_segment_align: 8
    .kernarg_segment_size: 104
    .language:       OpenCL C
    .language_version:
      - 2
      - 0
    .max_flat_workgroup_size: 64
    .name:           bluestein_single_fwd_len13_dim1_dp_op_CI_CI
    .private_segment_fixed_size: 0
    .sgpr_count:     100
    .sgpr_spill_count: 8
    .symbol:         bluestein_single_fwd_len13_dim1_dp_op_CI_CI.kd
    .uniform_work_group_size: 1
    .uses_dynamic_stack: false
    .vgpr_count:     111
    .vgpr_spill_count: 0
    .wavefront_size: 64
amdhsa.target:   amdgcn-amd-amdhsa--gfx906
amdhsa.version:
  - 1
  - 2
...

	.end_amdgpu_metadata
